;; amdgpu-corpus repo=zjin-lcf/HeCBench kind=compiled arch=gfx906 opt=O3
	.amdgcn_target "amdgcn-amd-amdhsa--gfx906"
	.amdhsa_code_object_version 6
	.text
	.protected	_Z35SigmoidCrossEntropyWithLogitsKernelibbPKfS0_Pf ; -- Begin function _Z35SigmoidCrossEntropyWithLogitsKernelibbPKfS0_Pf
	.globl	_Z35SigmoidCrossEntropyWithLogitsKernelibbPKfS0_Pf
	.p2align	8
	.type	_Z35SigmoidCrossEntropyWithLogitsKernelibbPKfS0_Pf,@function
_Z35SigmoidCrossEntropyWithLogitsKernelibbPKfS0_Pf: ; @_Z35SigmoidCrossEntropyWithLogitsKernelibbPKfS0_Pf
; %bb.0:
	s_load_dwordx2 s[12:13], s[4:5], 0x0
	s_load_dwordx4 s[8:11], s[4:5], 0x8
	s_load_dwordx2 s[2:3], s[4:5], 0x18
	s_add_i32 s0, s6, 1
	v_mov_b32_e32 v3, 0
	s_waitcnt lgkmcnt(0)
	s_mul_i32 s7, s12, s0
	s_mul_i32 s0, s12, s6
	v_add_u32_e32 v1, s0, v0
	v_cmp_gt_i32_e32 vcc, s7, v1
	s_and_saveexec_b64 s[14:15], vcc
	s_cbranch_execz .LBB0_12
; %bb.1:
	s_load_dword s16, s[4:5], 0x4
	s_bitcmp1_b32 s13, 0
	s_load_dword s13, s[4:5], 0x2c
	s_cselect_b64 s[0:1], -1, 0
	s_xor_b64 s[4:5], s[0:1], -1
	s_waitcnt lgkmcnt(0)
	s_bitcmp1_b32 s16, 8
	s_cselect_b64 s[0:1], -1, 0
	s_xor_b64 s[16:17], s[0:1], -1
	s_and_b32 s13, s13, 0xffff
	v_mov_b32_e32 v3, 0
	s_mov_b64 s[18:19], 0
	v_mov_b32_e32 v4, s9
	v_mov_b32_e32 v5, s11
	s_mov_b32 s9, 0x3fb8aa3b
	s_mov_b32 s11, 0xc2ce8ed0
	;; [unrolled: 1-line block ×6, first 2 shown]
	v_mov_b32_e32 v6, 0x7f800000
	v_mov_b32_e32 v7, 0x41b17218
	s_branch .LBB0_3
.LBB0_2:                                ;   in Loop: Header=BB0_3 Depth=1
	v_add_u32_e32 v1, s13, v1
	v_cmp_le_i32_e32 vcc, s7, v1
	s_or_b64 s[18:19], vcc, s[18:19]
	v_add_f32_e32 v3, v3, v9
	s_andn2_b64 exec, exec, s[18:19]
	s_cbranch_execz .LBB0_11
.LBB0_3:                                ; =>This Inner Loop Header: Depth=1
	s_waitcnt vmcnt(1)
	v_ashrrev_i32_e32 v2, 31, v1
	s_waitcnt vmcnt(0)
	v_lshlrev_b64 v[8:9], 2, v[1:2]
	s_mov_b64 s[0:1], -1
	v_add_co_u32_e32 v10, vcc, s8, v8
	v_addc_co_u32_e32 v11, vcc, v4, v9, vcc
	v_add_co_u32_e32 v8, vcc, s10, v8
	v_addc_co_u32_e32 v9, vcc, v5, v9, vcc
	global_load_dword v2, v[10:11], off
	s_and_b64 vcc, exec, s[16:17]
	global_load_dword v8, v[8:9], off
                                        ; implicit-def: $vgpr9
	s_cbranch_vccz .LBB0_9
; %bb.4:                                ;   in Loop: Header=BB0_3 Depth=1
	s_and_b64 vcc, exec, s[4:5]
                                        ; implicit-def: $vgpr9
	s_cbranch_vccz .LBB0_6
; %bb.5:                                ;   in Loop: Header=BB0_3 Depth=1
	s_waitcnt vmcnt(1)
	v_cmp_le_f32_e32 vcc, 0, v2
	v_cndmask_b32_e64 v9, 0, 1.0, vcc
	v_add_f32_e32 v10, v2, v2
	v_fma_f32 v10, -v10, v9, v2
	v_mul_f32_e32 v11, 0x3fb8aa3b, v10
	v_fma_f32 v12, v10, s9, -v11
	v_rndne_f32_e32 v13, v11
	v_fmac_f32_e32 v12, 0x32a5705f, v10
	v_sub_f32_e32 v11, v11, v13
	v_add_f32_e32 v11, v11, v12
	v_exp_f32_e32 v11, v11
	v_cvt_i32_f32_e32 v12, v13
	v_cmp_ngt_f32_e32 vcc, s11, v10
	s_waitcnt vmcnt(0)
	v_sub_f32_e32 v9, v8, v9
	v_ldexp_f32 v11, v11, v12
	v_cndmask_b32_e32 v11, 0, v11, vcc
	v_cmp_nlt_f32_e32 vcc, s20, v10
	v_cndmask_b32_e32 v10, v6, v11, vcc
	v_add_f32_e32 v10, 1.0, v10
	v_cmp_gt_f32_e32 vcc, s22, v10
	v_cndmask_b32_e64 v11, 0, 32, vcc
	v_ldexp_f32 v10, v10, v11
	v_log_f32_e32 v10, v10
	v_mul_f32_e32 v11, 0x3f317217, v10
	v_fma_f32 v11, v10, s23, -v11
	v_fmac_f32_e32 v11, 0x3377d1cf, v10
	v_fmac_f32_e32 v11, 0x3f317217, v10
	v_cmp_lt_f32_e64 s[0:1], |v10|, s21
	v_cndmask_b32_e64 v10, v10, v11, s[0:1]
	v_cndmask_b32_e32 v11, 0, v7, vcc
	v_sub_f32_e32 v10, v10, v11
	v_fma_f32 v9, v2, v9, -v10
	s_mov_b64 s[0:1], 0
.LBB0_6:                                ;   in Loop: Header=BB0_3 Depth=1
	s_andn2_b64 vcc, exec, s[0:1]
	s_cbranch_vccnz .LBB0_8
; %bb.7:                                ;   in Loop: Header=BB0_3 Depth=1
	s_waitcnt vmcnt(1)
	v_cmp_le_f32_e32 vcc, 0, v2
	v_cndmask_b32_e64 v9, 0, 1.0, vcc
	v_add_f32_e32 v10, v2, v2
	v_fma_f32 v10, -v10, v9, v2
	v_mul_f32_e32 v11, 0x3fb8aa3b, v10
	v_fma_f32 v12, v10, s9, -v11
	v_rndne_f32_e32 v13, v11
	v_fmac_f32_e32 v12, 0x32a5705f, v10
	v_sub_f32_e32 v11, v11, v13
	v_add_f32_e32 v11, v11, v12
	v_exp_f32_e32 v11, v11
	v_cvt_i32_f32_e32 v12, v13
	v_cmp_ngt_f32_e32 vcc, s11, v10
	v_ldexp_f32 v11, v11, v12
	v_cndmask_b32_e32 v11, 0, v11, vcc
	v_cmp_nlt_f32_e32 vcc, s20, v10
	v_cndmask_b32_e32 v10, v6, v11, vcc
	v_add_f32_e32 v10, 1.0, v10
	v_cmp_gt_f32_e32 vcc, s22, v10
	v_cndmask_b32_e64 v11, 0, 32, vcc
	v_ldexp_f32 v10, v10, v11
	v_log_f32_e32 v10, v10
	s_waitcnt vmcnt(0)
	v_fma_f32 v11, v8, 2.0, -1.0
	v_mul_f32_e32 v12, 0x3f317217, v10
	v_fma_f32 v12, v10, s23, -v12
	v_fmac_f32_e32 v12, 0x3377d1cf, v10
	v_fmac_f32_e32 v12, 0x3f317217, v10
	v_cmp_lt_f32_e64 s[0:1], |v10|, s21
	v_cndmask_b32_e64 v10, v10, v12, s[0:1]
	v_cndmask_b32_e32 v12, 0, v7, vcc
	v_sub_f32_e32 v10, v10, v12
	v_fmac_f32_e32 v10, v2, v9
	v_sub_f32_e32 v9, v2, v10
	v_mul_f32_e32 v9, v11, v9
.LBB0_8:                                ;   in Loop: Header=BB0_3 Depth=1
	s_mov_b64 s[0:1], 0
.LBB0_9:                                ;   in Loop: Header=BB0_3 Depth=1
	s_andn2_b64 vcc, exec, s[0:1]
	s_cbranch_vccnz .LBB0_2
; %bb.10:                               ;   in Loop: Header=BB0_3 Depth=1
	s_waitcnt vmcnt(1)
	v_cmp_le_f32_e32 vcc, 0, v2
	v_cndmask_b32_e64 v9, 0, 1.0, vcc
	v_add_f32_e32 v10, v2, v2
	v_fma_f32 v10, -v10, v9, v2
	v_mul_f32_e32 v11, 0x3fb8aa3b, v10
	v_fma_f32 v12, v10, s9, -v11
	v_rndne_f32_e32 v13, v11
	v_fmac_f32_e32 v12, 0x32a5705f, v10
	v_sub_f32_e32 v11, v11, v13
	v_add_f32_e32 v11, v11, v12
	v_exp_f32_e32 v11, v11
	v_cvt_i32_f32_e32 v12, v13
	v_cmp_ngt_f32_e32 vcc, s11, v10
	s_waitcnt vmcnt(0)
	v_add_f32_e32 v13, -1.0, v8
	v_mul_f32_e32 v13, v2, v13
	v_ldexp_f32 v11, v11, v12
	v_cndmask_b32_e32 v11, 0, v11, vcc
	v_cmp_nlt_f32_e32 vcc, s20, v10
	v_cndmask_b32_e32 v10, v6, v11, vcc
	v_add_f32_e32 v10, 1.0, v10
	v_cmp_gt_f32_e32 vcc, s22, v10
	v_cndmask_b32_e64 v11, 0, 32, vcc
	v_ldexp_f32 v10, v10, v11
	v_log_f32_e32 v10, v10
	v_mul_f32_e32 v9, v13, v9
	v_fmac_f32_e32 v9, v2, v8
	v_sub_f32_e32 v2, 1.0, v8
	v_mul_f32_e32 v8, 0x3f317217, v10
	v_fma_f32 v8, v10, s23, -v8
	v_fmac_f32_e32 v8, 0x3377d1cf, v10
	v_fmac_f32_e32 v8, 0x3f317217, v10
	v_cmp_lt_f32_e64 s[0:1], |v10|, s21
	v_cndmask_b32_e64 v8, v10, v8, s[0:1]
	v_cndmask_b32_e32 v10, 0, v7, vcc
	v_sub_f32_e32 v8, v8, v10
	v_fma_f32 v9, -v2, v8, v9
	s_branch .LBB0_2
.LBB0_11:
	s_or_b64 exec, exec, s[18:19]
.LBB0_12:
	s_or_b64 exec, exec, s[14:15]
	v_mbcnt_lo_u32_b32 v1, -1, 0
	s_waitcnt vmcnt(1)
	v_mbcnt_hi_u32_b32 v2, -1, v1
	v_cmp_eq_u32_e32 vcc, 0, v2
	v_add_f32_dpp v1, v3, v3 quad_perm:[1,0,3,2] row_mask:0xf bank_mask:0xf bound_ctrl:1
	v_lshlrev_b32_e32 v3, 2, v2
	v_or_b32_e32 v4, 0xfc, v3
	v_add_f32_dpp v1, v1, v1 quad_perm:[2,3,0,1] row_mask:0xf bank_mask:0xf bound_ctrl:1
	s_nop 1
	v_add_f32_dpp v1, v1, v1 row_ror:4 row_mask:0xf bank_mask:0xf bound_ctrl:1
	s_nop 1
	v_add_f32_dpp v1, v1, v1 row_ror:8 row_mask:0xf bank_mask:0xf bound_ctrl:1
	s_nop 1
	v_add_f32_dpp v1, v1, v1 row_bcast:15 row_mask:0xf bank_mask:0xf bound_ctrl:1
	s_nop 1
	v_add_f32_dpp v1, v1, v1 row_bcast:31 row_mask:0xf bank_mask:0xf bound_ctrl:1
	ds_bpermute_b32 v1, v4, v1
	s_and_saveexec_b64 s[0:1], vcc
	s_cbranch_execz .LBB0_14
; %bb.13:
	v_lshrrev_b32_e32 v4, 4, v0
	v_and_b32_e32 v4, 60, v4
	s_waitcnt lgkmcnt(0)
	ds_write_b32 v4, v1
.LBB0_14:
	s_or_b64 exec, exec, s[0:1]
	v_cmp_gt_u32_e32 vcc, 64, v0
	s_waitcnt vmcnt(0) lgkmcnt(0)
	s_barrier
	s_and_saveexec_b64 s[0:1], vcc
	s_cbranch_execnz .LBB0_17
; %bb.15:
	s_or_b64 exec, exec, s[0:1]
	v_cmp_eq_u32_e32 vcc, 0, v0
	s_and_saveexec_b64 s[0:1], vcc
	s_cbranch_execnz .LBB0_18
.LBB0_16:
	s_endpgm
.LBB0_17:
	v_and_b32_e32 v1, 3, v2
	v_lshlrev_b32_e32 v4, 2, v1
	ds_read_b32 v4, v4
	v_cmp_ne_u32_e32 vcc, 3, v1
	v_addc_co_u32_e32 v1, vcc, 0, v2, vcc
	v_lshlrev_b32_e32 v1, 2, v1
	s_waitcnt lgkmcnt(0)
	ds_bpermute_b32 v1, v1, v4
	v_or_b32_e32 v2, 8, v3
	s_waitcnt lgkmcnt(0)
	v_add_f32_e32 v1, v4, v1
	ds_bpermute_b32 v2, v2, v1
	s_waitcnt lgkmcnt(0)
	v_add_f32_e32 v1, v1, v2
	s_or_b64 exec, exec, s[0:1]
	v_cmp_eq_u32_e32 vcc, 0, v0
	s_and_saveexec_b64 s[0:1], vcc
	s_cbranch_execz .LBB0_16
.LBB0_18:
	v_cvt_f32_i32_e32 v0, s12
	s_ashr_i32 s7, s6, 31
	v_div_scale_f32 v2, s[0:1], v0, v0, -v1
	v_div_scale_f32 v3, vcc, -v1, v0, -v1
	s_lshl_b64 s[0:1], s[6:7], 2
	s_add_u32 s0, s2, s0
	s_addc_u32 s1, s3, s1
	v_rcp_f32_e32 v4, v2
	v_fma_f32 v5, -v2, v4, 1.0
	v_fmac_f32_e32 v4, v5, v4
	v_mul_f32_e32 v5, v3, v4
	v_fma_f32 v6, -v2, v5, v3
	v_fmac_f32_e32 v5, v6, v4
	v_fma_f32 v2, -v2, v5, v3
	v_div_fmas_f32 v2, v2, v4, v5
	v_div_fixup_f32 v0, v2, v0, -v1
	v_mov_b32_e32 v1, 0
	global_store_dword v1, v0, s[0:1]
	s_endpgm
	.section	.rodata,"a",@progbits
	.p2align	6, 0x0
	.amdhsa_kernel _Z35SigmoidCrossEntropyWithLogitsKernelibbPKfS0_Pf
		.amdhsa_group_segment_fixed_size 16
		.amdhsa_private_segment_fixed_size 0
		.amdhsa_kernarg_size 288
		.amdhsa_user_sgpr_count 6
		.amdhsa_user_sgpr_private_segment_buffer 1
		.amdhsa_user_sgpr_dispatch_ptr 0
		.amdhsa_user_sgpr_queue_ptr 0
		.amdhsa_user_sgpr_kernarg_segment_ptr 1
		.amdhsa_user_sgpr_dispatch_id 0
		.amdhsa_user_sgpr_flat_scratch_init 0
		.amdhsa_user_sgpr_private_segment_size 0
		.amdhsa_uses_dynamic_stack 0
		.amdhsa_system_sgpr_private_segment_wavefront_offset 0
		.amdhsa_system_sgpr_workgroup_id_x 1
		.amdhsa_system_sgpr_workgroup_id_y 0
		.amdhsa_system_sgpr_workgroup_id_z 0
		.amdhsa_system_sgpr_workgroup_info 0
		.amdhsa_system_vgpr_workitem_id 0
		.amdhsa_next_free_vgpr 14
		.amdhsa_next_free_sgpr 24
		.amdhsa_reserve_vcc 1
		.amdhsa_reserve_flat_scratch 0
		.amdhsa_float_round_mode_32 0
		.amdhsa_float_round_mode_16_64 0
		.amdhsa_float_denorm_mode_32 3
		.amdhsa_float_denorm_mode_16_64 3
		.amdhsa_dx10_clamp 1
		.amdhsa_ieee_mode 1
		.amdhsa_fp16_overflow 0
		.amdhsa_exception_fp_ieee_invalid_op 0
		.amdhsa_exception_fp_denorm_src 0
		.amdhsa_exception_fp_ieee_div_zero 0
		.amdhsa_exception_fp_ieee_overflow 0
		.amdhsa_exception_fp_ieee_underflow 0
		.amdhsa_exception_fp_ieee_inexact 0
		.amdhsa_exception_int_div_zero 0
	.end_amdhsa_kernel
	.text
.Lfunc_end0:
	.size	_Z35SigmoidCrossEntropyWithLogitsKernelibbPKfS0_Pf, .Lfunc_end0-_Z35SigmoidCrossEntropyWithLogitsKernelibbPKfS0_Pf
                                        ; -- End function
	.set _Z35SigmoidCrossEntropyWithLogitsKernelibbPKfS0_Pf.num_vgpr, 14
	.set _Z35SigmoidCrossEntropyWithLogitsKernelibbPKfS0_Pf.num_agpr, 0
	.set _Z35SigmoidCrossEntropyWithLogitsKernelibbPKfS0_Pf.numbered_sgpr, 24
	.set _Z35SigmoidCrossEntropyWithLogitsKernelibbPKfS0_Pf.num_named_barrier, 0
	.set _Z35SigmoidCrossEntropyWithLogitsKernelibbPKfS0_Pf.private_seg_size, 0
	.set _Z35SigmoidCrossEntropyWithLogitsKernelibbPKfS0_Pf.uses_vcc, 1
	.set _Z35SigmoidCrossEntropyWithLogitsKernelibbPKfS0_Pf.uses_flat_scratch, 0
	.set _Z35SigmoidCrossEntropyWithLogitsKernelibbPKfS0_Pf.has_dyn_sized_stack, 0
	.set _Z35SigmoidCrossEntropyWithLogitsKernelibbPKfS0_Pf.has_recursion, 0
	.set _Z35SigmoidCrossEntropyWithLogitsKernelibbPKfS0_Pf.has_indirect_call, 0
	.section	.AMDGPU.csdata,"",@progbits
; Kernel info:
; codeLenInByte = 1312
; TotalNumSgprs: 28
; NumVgprs: 14
; ScratchSize: 0
; MemoryBound: 0
; FloatMode: 240
; IeeeMode: 1
; LDSByteSize: 16 bytes/workgroup (compile time only)
; SGPRBlocks: 3
; VGPRBlocks: 3
; NumSGPRsForWavesPerEU: 28
; NumVGPRsForWavesPerEU: 14
; Occupancy: 10
; WaveLimiterHint : 0
; COMPUTE_PGM_RSRC2:SCRATCH_EN: 0
; COMPUTE_PGM_RSRC2:USER_SGPR: 6
; COMPUTE_PGM_RSRC2:TRAP_HANDLER: 0
; COMPUTE_PGM_RSRC2:TGID_X_EN: 1
; COMPUTE_PGM_RSRC2:TGID_Y_EN: 0
; COMPUTE_PGM_RSRC2:TGID_Z_EN: 0
; COMPUTE_PGM_RSRC2:TIDIG_COMP_CNT: 0
	.section	.AMDGPU.gpr_maximums,"",@progbits
	.set amdgpu.max_num_vgpr, 0
	.set amdgpu.max_num_agpr, 0
	.set amdgpu.max_num_sgpr, 0
	.section	.AMDGPU.csdata,"",@progbits
	.type	__hip_cuid_90f583459bb52135,@object ; @__hip_cuid_90f583459bb52135
	.section	.bss,"aw",@nobits
	.globl	__hip_cuid_90f583459bb52135
__hip_cuid_90f583459bb52135:
	.byte	0                               ; 0x0
	.size	__hip_cuid_90f583459bb52135, 1

	.ident	"AMD clang version 22.0.0git (https://github.com/RadeonOpenCompute/llvm-project roc-7.2.4 26084 f58b06dce1f9c15707c5f808fd002e18c2accf7e)"
	.section	".note.GNU-stack","",@progbits
	.addrsig
	.addrsig_sym __hip_cuid_90f583459bb52135
	.amdgpu_metadata
---
amdhsa.kernels:
  - .args:
      - .offset:         0
        .size:           4
        .value_kind:     by_value
      - .offset:         4
        .size:           1
        .value_kind:     by_value
      - .offset:         5
        .size:           1
        .value_kind:     by_value
      - .address_space:  global
        .offset:         8
        .size:           8
        .value_kind:     global_buffer
      - .address_space:  global
        .offset:         16
        .size:           8
        .value_kind:     global_buffer
      - .address_space:  global
        .offset:         24
        .size:           8
        .value_kind:     global_buffer
      - .offset:         32
        .size:           4
        .value_kind:     hidden_block_count_x
      - .offset:         36
        .size:           4
        .value_kind:     hidden_block_count_y
      - .offset:         40
        .size:           4
        .value_kind:     hidden_block_count_z
      - .offset:         44
        .size:           2
        .value_kind:     hidden_group_size_x
      - .offset:         46
        .size:           2
        .value_kind:     hidden_group_size_y
      - .offset:         48
        .size:           2
        .value_kind:     hidden_group_size_z
      - .offset:         50
        .size:           2
        .value_kind:     hidden_remainder_x
      - .offset:         52
        .size:           2
        .value_kind:     hidden_remainder_y
      - .offset:         54
        .size:           2
        .value_kind:     hidden_remainder_z
      - .offset:         72
        .size:           8
        .value_kind:     hidden_global_offset_x
      - .offset:         80
        .size:           8
        .value_kind:     hidden_global_offset_y
      - .offset:         88
        .size:           8
        .value_kind:     hidden_global_offset_z
      - .offset:         96
        .size:           2
        .value_kind:     hidden_grid_dims
    .group_segment_fixed_size: 16
    .kernarg_segment_align: 8
    .kernarg_segment_size: 288
    .language:       OpenCL C
    .language_version:
      - 2
      - 0
    .max_flat_workgroup_size: 1024
    .name:           _Z35SigmoidCrossEntropyWithLogitsKernelibbPKfS0_Pf
    .private_segment_fixed_size: 0
    .sgpr_count:     28
    .sgpr_spill_count: 0
    .symbol:         _Z35SigmoidCrossEntropyWithLogitsKernelibbPKfS0_Pf.kd
    .uniform_work_group_size: 1
    .uses_dynamic_stack: false
    .vgpr_count:     14
    .vgpr_spill_count: 0
    .wavefront_size: 64
amdhsa.target:   amdgcn-amd-amdhsa--gfx906
amdhsa.version:
  - 1
  - 2
...

	.end_amdgpu_metadata
